;; amdgpu-corpus repo=zjin-lcf/HeCBench kind=compiled arch=gfx906 opt=O3
	.amdgcn_target "amdgcn-amd-amdhsa--gfx906"
	.amdhsa_code_object_version 6
	.section	.text._Z45unrolled_elementwise_kernel_for_multi_outputsILi2EZ4mainEUlffffE_5ArrayIPcLi6EE23TrivialOffsetCalculatorILi4EjES4_ILi2EjEEviT0_T1_T2_T3_,"axG",@progbits,_Z45unrolled_elementwise_kernel_for_multi_outputsILi2EZ4mainEUlffffE_5ArrayIPcLi6EE23TrivialOffsetCalculatorILi4EjES4_ILi2EjEEviT0_T1_T2_T3_,comdat
	.globl	_Z45unrolled_elementwise_kernel_for_multi_outputsILi2EZ4mainEUlffffE_5ArrayIPcLi6EE23TrivialOffsetCalculatorILi4EjES4_ILi2EjEEviT0_T1_T2_T3_ ; -- Begin function _Z45unrolled_elementwise_kernel_for_multi_outputsILi2EZ4mainEUlffffE_5ArrayIPcLi6EE23TrivialOffsetCalculatorILi4EjES4_ILi2EjEEviT0_T1_T2_T3_
	.p2align	8
	.type	_Z45unrolled_elementwise_kernel_for_multi_outputsILi2EZ4mainEUlffffE_5ArrayIPcLi6EE23TrivialOffsetCalculatorILi4EjES4_ILi2EjEEviT0_T1_T2_T3_,@function
_Z45unrolled_elementwise_kernel_for_multi_outputsILi2EZ4mainEUlffffE_5ArrayIPcLi6EE23TrivialOffsetCalculatorILi4EjES4_ILi2EjEEviT0_T1_T2_T3_: ; @_Z45unrolled_elementwise_kernel_for_multi_outputsILi2EZ4mainEUlffffE_5ArrayIPcLi6EE23TrivialOffsetCalculatorILi4EjES4_ILi2EjEEviT0_T1_T2_T3_
; %bb.0:
	s_load_dword s0, s[4:5], 0x0
	s_load_dwordx8 s[8:15], s[4:5], 0x8
	s_load_dwordx4 s[16:19], s[4:5], 0x28
	s_lshl_b32 s22, s6, 9
                                        ; implicit-def: $vgpr7
	s_waitcnt lgkmcnt(0)
	s_sub_i32 s23, s0, s22
	v_cmp_gt_i32_e32 vcc, s23, v0
	v_cmp_le_i32_e64 s[0:1], s23, v0
	s_and_saveexec_b64 s[2:3], s[0:1]
	s_xor_b64 s[0:1], exec, s[2:3]
; %bb.1:
	v_add_u32_e32 v7, 0x80, v0
; %bb.2:
	s_or_saveexec_b64 s[2:3], s[0:1]
	v_mov_b32_e32 v18, 0
	v_add_u32_e32 v1, s22, v0
	v_mov_b32_e32 v17, 0
	v_mov_b32_e32 v16, 0
	;; [unrolled: 1-line block ×15, first 2 shown]
	s_xor_b64 exec, exec, s[2:3]
	s_cbranch_execz .LBB0_10
; %bb.3:
	v_mov_b32_e32 v2, 0
	v_lshlrev_b64 v[3:4], 2, v[1:2]
	v_mov_b32_e32 v6, s13
	v_add_co_u32_e64 v5, s[0:1], s12, v3
	v_addc_co_u32_e64 v6, s[0:1], v6, v4, s[0:1]
	global_load_dword v5, v[5:6], off
	v_mov_b32_e32 v7, s15
	v_add_co_u32_e64 v6, s[0:1], s14, v3
	v_addc_co_u32_e64 v7, s[0:1], v7, v4, s[0:1]
	global_load_dword v6, v[6:7], off
	;; [unrolled: 4-line block ×4, first 2 shown]
	v_add_u32_e32 v7, 0x80, v0
	v_cmp_gt_u32_e64 s[0:1], s23, v7
	v_mov_b32_e32 v12, v2
	v_mov_b32_e32 v9, v2
	v_mov_b32_e32 v8, v2
	v_mov_b32_e32 v3, v2
	v_mov_b32_e32 v14, v2
	v_mov_b32_e32 v13, v2
	v_mov_b32_e32 v11, v2
	v_mov_b32_e32 v4, v2
	v_mov_b32_e32 v16, v2
	v_mov_b32_e32 v17, v2
	v_mov_b32_e32 v18, v2
	s_and_saveexec_b64 s[4:5], s[0:1]
	s_cbranch_execz .LBB0_9
; %bb.4:
	v_add_u32_e32 v2, s22, v7
	v_mov_b32_e32 v3, 0
	v_lshlrev_b64 v[13:14], 2, v[2:3]
	v_mov_b32_e32 v2, s13
	v_add_co_u32_e64 v8, s[0:1], s12, v13
	v_addc_co_u32_e64 v9, s[0:1], v2, v14, s[0:1]
	v_mov_b32_e32 v2, s15
	v_add_co_u32_e64 v11, s[0:1], s14, v13
	v_addc_co_u32_e64 v12, s[0:1], v2, v14, s[0:1]
	global_load_dword v8, v[8:9], off
	v_mov_b32_e32 v2, s17
	global_load_dword v9, v[11:12], off
	v_add_co_u32_e64 v11, s[0:1], s16, v13
	v_addc_co_u32_e64 v12, s[0:1], v2, v14, s[0:1]
	v_mov_b32_e32 v2, s19
	v_add_co_u32_e64 v13, s[0:1], s18, v13
	v_addc_co_u32_e64 v14, s[0:1], v2, v14, s[0:1]
	global_load_dword v12, v[11:12], off
	v_add_u32_e32 v19, 0x100, v0
	global_load_dword v2, v[13:14], off
	v_cmp_gt_u32_e64 s[0:1], s23, v19
	v_mov_b32_e32 v14, v3
	v_mov_b32_e32 v13, v3
	v_mov_b32_e32 v11, v3
	v_mov_b32_e32 v4, v3
	v_mov_b32_e32 v16, v3
	v_mov_b32_e32 v17, v3
	v_mov_b32_e32 v18, v3
	s_and_saveexec_b64 s[6:7], s[0:1]
	s_cbranch_execz .LBB0_8
; %bb.5:
	v_add_u32_e32 v3, s22, v19
	v_mov_b32_e32 v4, 0
	v_lshlrev_b64 v[16:17], 2, v[3:4]
	v_mov_b32_e32 v3, s13
	v_add_co_u32_e64 v13, s[0:1], s12, v16
	v_addc_co_u32_e64 v14, s[0:1], v3, v17, s[0:1]
	global_load_dword v11, v[13:14], off
	v_mov_b32_e32 v3, s15
	v_add_co_u32_e64 v13, s[0:1], s14, v16
	v_addc_co_u32_e64 v14, s[0:1], v3, v17, s[0:1]
	v_mov_b32_e32 v3, s17
	v_add_co_u32_e64 v18, s[0:1], s16, v16
	v_addc_co_u32_e64 v19, s[0:1], v3, v17, s[0:1]
	;; [unrolled: 3-line block ×3, first 2 shown]
	global_load_dword v13, v[13:14], off
	s_nop 0
	global_load_dword v14, v[18:19], off
	global_load_dword v3, v[16:17], off
	v_add_u32_e32 v19, 0x180, v0
	v_cmp_gt_u32_e64 s[0:1], s23, v19
	v_mov_b32_e32 v16, v4
	v_mov_b32_e32 v17, v4
	v_mov_b32_e32 v18, v4
	s_and_saveexec_b64 s[20:21], s[0:1]
	s_cbranch_execz .LBB0_7
; %bb.6:
	v_add_u32_e32 v16, s22, v19
	v_mov_b32_e32 v17, 0
	v_lshlrev_b64 v[16:17], 2, v[16:17]
	v_mov_b32_e32 v4, s19
	v_add_co_u32_e64 v19, s[0:1], s18, v16
	v_addc_co_u32_e64 v20, s[0:1], v4, v17, s[0:1]
	v_mov_b32_e32 v4, s17
	v_add_co_u32_e64 v21, s[0:1], s16, v16
	v_addc_co_u32_e64 v22, s[0:1], v4, v17, s[0:1]
	;; [unrolled: 3-line block ×4, first 2 shown]
	global_load_dword v18, v[25:26], off
	global_load_dword v17, v[23:24], off
	;; [unrolled: 1-line block ×4, first 2 shown]
.LBB0_7:
	s_or_b64 exec, exec, s[20:21]
.LBB0_8:
	s_or_b64 exec, exec, s[6:7]
.LBB0_9:
	s_or_b64 exec, exec, s[4:5]
.LBB0_10:
	s_or_b64 exec, exec, s[2:3]
	s_and_saveexec_b64 s[0:1], vcc
	s_cbranch_execz .LBB0_15
; %bb.11:
	s_waitcnt vmcnt(0)
	v_mul_f32_e32 v19, v6, v15
	v_mul_f32_e32 v15, v5, v15
	v_fma_f32 v23, v5, v10, -v19
	v_fmac_f32_e32 v15, v6, v10
	v_mov_b32_e32 v6, 0
	v_mov_b32_e32 v5, v1
	v_lshlrev_b64 v[19:20], 2, v[5:6]
	v_mov_b32_e32 v1, s9
	v_add_co_u32_e64 v21, s[0:1], s8, v19
	v_addc_co_u32_e64 v22, s[0:1], v1, v20, s[0:1]
	v_mov_b32_e32 v1, s11
	v_add_co_u32_e64 v19, s[0:1], s10, v19
	v_cmp_gt_u32_e32 vcc, s23, v7
	v_addc_co_u32_e64 v20, s[0:1], v1, v20, s[0:1]
	global_store_dword v[21:22], v23, off
	global_store_dword v[19:20], v15, off
	s_and_b64 exec, exec, vcc
	s_cbranch_execz .LBB0_15
; %bb.12:
	v_add_u32_e32 v5, s22, v7
	v_lshlrev_b64 v[5:6], 2, v[5:6]
	v_mul_f32_e32 v1, v9, v2
	v_fma_f32 v10, v8, v12, -v1
	v_mul_f32_e32 v2, v8, v2
	v_mov_b32_e32 v8, s9
	v_add_co_u32_e64 v7, s[0:1], s8, v5
	v_addc_co_u32_e64 v8, s[0:1], v8, v6, s[0:1]
	v_add_u32_e32 v1, 0x100, v0
	global_store_dword v[7:8], v10, off
	v_mov_b32_e32 v7, s11
	v_add_co_u32_e64 v5, s[0:1], s10, v5
	v_fmac_f32_e32 v2, v9, v12
	v_cmp_gt_u32_e32 vcc, s23, v1
	v_addc_co_u32_e64 v6, s[0:1], v7, v6, s[0:1]
	global_store_dword v[5:6], v2, off
	s_and_b64 exec, exec, vcc
	s_cbranch_execz .LBB0_15
; %bb.13:
	v_mul_f32_e32 v2, v13, v3
	v_fma_f32 v9, v11, v14, -v2
	v_add_u32_e32 v2, 0x180, v0
	v_add_u32_e32 v0, s22, v1
	v_mov_b32_e32 v1, 0
	v_lshlrev_b64 v[5:6], 2, v[0:1]
	v_mov_b32_e32 v0, s9
	v_add_co_u32_e64 v7, s[0:1], s8, v5
	v_addc_co_u32_e64 v8, s[0:1], v0, v6, s[0:1]
	v_mul_f32_e32 v3, v11, v3
	v_mov_b32_e32 v0, s11
	v_add_co_u32_e64 v5, s[0:1], s10, v5
	v_fmac_f32_e32 v3, v13, v14
	v_cmp_gt_u32_e32 vcc, s23, v2
	v_addc_co_u32_e64 v6, s[0:1], v0, v6, s[0:1]
	global_store_dword v[7:8], v9, off
	global_store_dword v[5:6], v3, off
	s_and_b64 exec, exec, vcc
	s_cbranch_execz .LBB0_15
; %bb.14:
	v_mul_f32_e32 v0, v17, v4
	v_fma_f32 v5, v18, v16, -v0
	v_add_u32_e32 v0, s22, v2
	v_lshlrev_b64 v[0:1], 2, v[0:1]
	v_mov_b32_e32 v3, s9
	v_add_co_u32_e32 v2, vcc, s8, v0
	v_addc_co_u32_e32 v3, vcc, v3, v1, vcc
	v_mul_f32_e32 v4, v18, v4
	v_mov_b32_e32 v6, s11
	v_add_co_u32_e32 v0, vcc, s10, v0
	v_fmac_f32_e32 v4, v17, v16
	v_addc_co_u32_e32 v1, vcc, v6, v1, vcc
	global_store_dword v[2:3], v5, off
	global_store_dword v[0:1], v4, off
.LBB0_15:
	s_endpgm
	.section	.rodata,"a",@progbits
	.p2align	6, 0x0
	.amdhsa_kernel _Z45unrolled_elementwise_kernel_for_multi_outputsILi2EZ4mainEUlffffE_5ArrayIPcLi6EE23TrivialOffsetCalculatorILi4EjES4_ILi2EjEEviT0_T1_T2_T3_
		.amdhsa_group_segment_fixed_size 0
		.amdhsa_private_segment_fixed_size 0
		.amdhsa_kernarg_size 60
		.amdhsa_user_sgpr_count 6
		.amdhsa_user_sgpr_private_segment_buffer 1
		.amdhsa_user_sgpr_dispatch_ptr 0
		.amdhsa_user_sgpr_queue_ptr 0
		.amdhsa_user_sgpr_kernarg_segment_ptr 1
		.amdhsa_user_sgpr_dispatch_id 0
		.amdhsa_user_sgpr_flat_scratch_init 0
		.amdhsa_user_sgpr_private_segment_size 0
		.amdhsa_uses_dynamic_stack 0
		.amdhsa_system_sgpr_private_segment_wavefront_offset 0
		.amdhsa_system_sgpr_workgroup_id_x 1
		.amdhsa_system_sgpr_workgroup_id_y 0
		.amdhsa_system_sgpr_workgroup_id_z 0
		.amdhsa_system_sgpr_workgroup_info 0
		.amdhsa_system_vgpr_workitem_id 0
		.amdhsa_next_free_vgpr 27
		.amdhsa_next_free_sgpr 24
		.amdhsa_reserve_vcc 1
		.amdhsa_reserve_flat_scratch 0
		.amdhsa_float_round_mode_32 0
		.amdhsa_float_round_mode_16_64 0
		.amdhsa_float_denorm_mode_32 3
		.amdhsa_float_denorm_mode_16_64 3
		.amdhsa_dx10_clamp 1
		.amdhsa_ieee_mode 1
		.amdhsa_fp16_overflow 0
		.amdhsa_exception_fp_ieee_invalid_op 0
		.amdhsa_exception_fp_denorm_src 0
		.amdhsa_exception_fp_ieee_div_zero 0
		.amdhsa_exception_fp_ieee_overflow 0
		.amdhsa_exception_fp_ieee_underflow 0
		.amdhsa_exception_fp_ieee_inexact 0
		.amdhsa_exception_int_div_zero 0
	.end_amdhsa_kernel
	.section	.text._Z45unrolled_elementwise_kernel_for_multi_outputsILi2EZ4mainEUlffffE_5ArrayIPcLi6EE23TrivialOffsetCalculatorILi4EjES4_ILi2EjEEviT0_T1_T2_T3_,"axG",@progbits,_Z45unrolled_elementwise_kernel_for_multi_outputsILi2EZ4mainEUlffffE_5ArrayIPcLi6EE23TrivialOffsetCalculatorILi4EjES4_ILi2EjEEviT0_T1_T2_T3_,comdat
.Lfunc_end0:
	.size	_Z45unrolled_elementwise_kernel_for_multi_outputsILi2EZ4mainEUlffffE_5ArrayIPcLi6EE23TrivialOffsetCalculatorILi4EjES4_ILi2EjEEviT0_T1_T2_T3_, .Lfunc_end0-_Z45unrolled_elementwise_kernel_for_multi_outputsILi2EZ4mainEUlffffE_5ArrayIPcLi6EE23TrivialOffsetCalculatorILi4EjES4_ILi2EjEEviT0_T1_T2_T3_
                                        ; -- End function
	.set _Z45unrolled_elementwise_kernel_for_multi_outputsILi2EZ4mainEUlffffE_5ArrayIPcLi6EE23TrivialOffsetCalculatorILi4EjES4_ILi2EjEEviT0_T1_T2_T3_.num_vgpr, 27
	.set _Z45unrolled_elementwise_kernel_for_multi_outputsILi2EZ4mainEUlffffE_5ArrayIPcLi6EE23TrivialOffsetCalculatorILi4EjES4_ILi2EjEEviT0_T1_T2_T3_.num_agpr, 0
	.set _Z45unrolled_elementwise_kernel_for_multi_outputsILi2EZ4mainEUlffffE_5ArrayIPcLi6EE23TrivialOffsetCalculatorILi4EjES4_ILi2EjEEviT0_T1_T2_T3_.numbered_sgpr, 24
	.set _Z45unrolled_elementwise_kernel_for_multi_outputsILi2EZ4mainEUlffffE_5ArrayIPcLi6EE23TrivialOffsetCalculatorILi4EjES4_ILi2EjEEviT0_T1_T2_T3_.num_named_barrier, 0
	.set _Z45unrolled_elementwise_kernel_for_multi_outputsILi2EZ4mainEUlffffE_5ArrayIPcLi6EE23TrivialOffsetCalculatorILi4EjES4_ILi2EjEEviT0_T1_T2_T3_.private_seg_size, 0
	.set _Z45unrolled_elementwise_kernel_for_multi_outputsILi2EZ4mainEUlffffE_5ArrayIPcLi6EE23TrivialOffsetCalculatorILi4EjES4_ILi2EjEEviT0_T1_T2_T3_.uses_vcc, 1
	.set _Z45unrolled_elementwise_kernel_for_multi_outputsILi2EZ4mainEUlffffE_5ArrayIPcLi6EE23TrivialOffsetCalculatorILi4EjES4_ILi2EjEEviT0_T1_T2_T3_.uses_flat_scratch, 0
	.set _Z45unrolled_elementwise_kernel_for_multi_outputsILi2EZ4mainEUlffffE_5ArrayIPcLi6EE23TrivialOffsetCalculatorILi4EjES4_ILi2EjEEviT0_T1_T2_T3_.has_dyn_sized_stack, 0
	.set _Z45unrolled_elementwise_kernel_for_multi_outputsILi2EZ4mainEUlffffE_5ArrayIPcLi6EE23TrivialOffsetCalculatorILi4EjES4_ILi2EjEEviT0_T1_T2_T3_.has_recursion, 0
	.set _Z45unrolled_elementwise_kernel_for_multi_outputsILi2EZ4mainEUlffffE_5ArrayIPcLi6EE23TrivialOffsetCalculatorILi4EjES4_ILi2EjEEviT0_T1_T2_T3_.has_indirect_call, 0
	.section	.AMDGPU.csdata,"",@progbits
; Kernel info:
; codeLenInByte = 1240
; TotalNumSgprs: 28
; NumVgprs: 27
; ScratchSize: 0
; MemoryBound: 0
; FloatMode: 240
; IeeeMode: 1
; LDSByteSize: 0 bytes/workgroup (compile time only)
; SGPRBlocks: 3
; VGPRBlocks: 6
; NumSGPRsForWavesPerEU: 28
; NumVGPRsForWavesPerEU: 27
; Occupancy: 9
; WaveLimiterHint : 0
; COMPUTE_PGM_RSRC2:SCRATCH_EN: 0
; COMPUTE_PGM_RSRC2:USER_SGPR: 6
; COMPUTE_PGM_RSRC2:TRAP_HANDLER: 0
; COMPUTE_PGM_RSRC2:TGID_X_EN: 1
; COMPUTE_PGM_RSRC2:TGID_Y_EN: 0
; COMPUTE_PGM_RSRC2:TGID_Z_EN: 0
; COMPUTE_PGM_RSRC2:TIDIG_COMP_CNT: 0
	.section	.AMDGPU.gpr_maximums,"",@progbits
	.set amdgpu.max_num_vgpr, 0
	.set amdgpu.max_num_agpr, 0
	.set amdgpu.max_num_sgpr, 0
	.section	.AMDGPU.csdata,"",@progbits
	.type	__hip_cuid_53217b93fa6fc852,@object ; @__hip_cuid_53217b93fa6fc852
	.section	.bss,"aw",@nobits
	.globl	__hip_cuid_53217b93fa6fc852
__hip_cuid_53217b93fa6fc852:
	.byte	0                               ; 0x0
	.size	__hip_cuid_53217b93fa6fc852, 1

	.ident	"AMD clang version 22.0.0git (https://github.com/RadeonOpenCompute/llvm-project roc-7.2.4 26084 f58b06dce1f9c15707c5f808fd002e18c2accf7e)"
	.section	".note.GNU-stack","",@progbits
	.addrsig
	.addrsig_sym __hip_cuid_53217b93fa6fc852
	.amdgpu_metadata
---
amdhsa.kernels:
  - .args:
      - .offset:         0
        .size:           4
        .value_kind:     by_value
      - .offset:         4
        .size:           1
        .value_kind:     by_value
      - .offset:         8
        .size:           48
        .value_kind:     by_value
      - .offset:         56
        .size:           1
        .value_kind:     by_value
      - .offset:         57
        .size:           1
        .value_kind:     by_value
    .group_segment_fixed_size: 0
    .kernarg_segment_align: 8
    .kernarg_segment_size: 60
    .language:       OpenCL C
    .language_version:
      - 2
      - 0
    .max_flat_workgroup_size: 1024
    .name:           _Z45unrolled_elementwise_kernel_for_multi_outputsILi2EZ4mainEUlffffE_5ArrayIPcLi6EE23TrivialOffsetCalculatorILi4EjES4_ILi2EjEEviT0_T1_T2_T3_
    .private_segment_fixed_size: 0
    .sgpr_count:     28
    .sgpr_spill_count: 0
    .symbol:         _Z45unrolled_elementwise_kernel_for_multi_outputsILi2EZ4mainEUlffffE_5ArrayIPcLi6EE23TrivialOffsetCalculatorILi4EjES4_ILi2EjEEviT0_T1_T2_T3_.kd
    .uniform_work_group_size: 1
    .uses_dynamic_stack: false
    .vgpr_count:     27
    .vgpr_spill_count: 0
    .wavefront_size: 64
amdhsa.target:   amdgcn-amd-amdhsa--gfx906
amdhsa.version:
  - 1
  - 2
...

	.end_amdgpu_metadata
